;; amdgpu-corpus repo=ROCm/rocFFT kind=compiled arch=gfx906 opt=O3
	.text
	.amdgcn_target "amdgcn-amd-amdhsa--gfx906"
	.amdhsa_code_object_version 6
	.protected	fft_rtc_back_len765_factors_17_3_5_3_wgs_255_tpt_51_halfLds_sp_op_CI_CI_unitstride_sbrr_dirReg ; -- Begin function fft_rtc_back_len765_factors_17_3_5_3_wgs_255_tpt_51_halfLds_sp_op_CI_CI_unitstride_sbrr_dirReg
	.globl	fft_rtc_back_len765_factors_17_3_5_3_wgs_255_tpt_51_halfLds_sp_op_CI_CI_unitstride_sbrr_dirReg
	.p2align	8
	.type	fft_rtc_back_len765_factors_17_3_5_3_wgs_255_tpt_51_halfLds_sp_op_CI_CI_unitstride_sbrr_dirReg,@function
fft_rtc_back_len765_factors_17_3_5_3_wgs_255_tpt_51_halfLds_sp_op_CI_CI_unitstride_sbrr_dirReg: ; @fft_rtc_back_len765_factors_17_3_5_3_wgs_255_tpt_51_halfLds_sp_op_CI_CI_unitstride_sbrr_dirReg
; %bb.0:
	v_mul_u32_u24_e32 v1, 0x506, v0
	s_load_dwordx4 s[8:11], s[4:5], 0x58
	s_load_dwordx4 s[12:15], s[4:5], 0x0
	;; [unrolled: 1-line block ×3, first 2 shown]
	v_lshrrev_b32_e32 v1, 16, v1
	v_mad_u64_u32 v[41:42], s[0:1], s6, 5, v[1:2]
	v_mov_b32_e32 v3, 0
	s_waitcnt lgkmcnt(0)
	v_cmp_lt_u64_e64 s[0:1], s[14:15], 2
	v_mov_b32_e32 v43, 0
	v_mov_b32_e32 v42, v3
	;; [unrolled: 1-line block ×5, first 2 shown]
	s_and_b64 vcc, exec, s[0:1]
	v_mov_b32_e32 v2, v44
	v_mov_b32_e32 v6, v42
	s_cbranch_vccnz .LBB0_8
; %bb.1:
	s_load_dwordx2 s[0:1], s[4:5], 0x10
	s_add_u32 s2, s18, 8
	s_addc_u32 s3, s19, 0
	s_add_u32 s6, s16, 8
	s_addc_u32 s7, s17, 0
	v_mov_b32_e32 v43, 0
	s_waitcnt lgkmcnt(0)
	s_add_u32 s20, s0, 8
	v_mov_b32_e32 v44, 0
	v_mov_b32_e32 v1, v43
	;; [unrolled: 1-line block ×3, first 2 shown]
	s_addc_u32 s21, s1, 0
	s_mov_b64 s[22:23], 1
	v_mov_b32_e32 v2, v44
	v_mov_b32_e32 v8, v42
.LBB0_2:                                ; =>This Inner Loop Header: Depth=1
	s_load_dwordx2 s[24:25], s[20:21], 0x0
                                        ; implicit-def: $vgpr5_vgpr6
	s_waitcnt lgkmcnt(0)
	v_or_b32_e32 v4, s25, v8
	v_cmp_ne_u64_e32 vcc, 0, v[3:4]
	s_and_saveexec_b64 s[0:1], vcc
	s_xor_b64 s[26:27], exec, s[0:1]
	s_cbranch_execz .LBB0_4
; %bb.3:                                ;   in Loop: Header=BB0_2 Depth=1
	v_cvt_f32_u32_e32 v4, s24
	v_cvt_f32_u32_e32 v5, s25
	s_sub_u32 s0, 0, s24
	s_subb_u32 s1, 0, s25
	v_mac_f32_e32 v4, 0x4f800000, v5
	v_rcp_f32_e32 v4, v4
	v_mul_f32_e32 v4, 0x5f7ffffc, v4
	v_mul_f32_e32 v5, 0x2f800000, v4
	v_trunc_f32_e32 v5, v5
	v_mac_f32_e32 v4, 0xcf800000, v5
	v_cvt_u32_f32_e32 v5, v5
	v_cvt_u32_f32_e32 v4, v4
	v_mul_lo_u32 v6, s0, v5
	v_mul_hi_u32 v9, s0, v4
	v_mul_lo_u32 v11, s1, v4
	v_mul_lo_u32 v10, s0, v4
	v_add_u32_e32 v6, v9, v6
	v_add_u32_e32 v6, v6, v11
	v_mul_hi_u32 v9, v4, v10
	v_mul_lo_u32 v11, v4, v6
	v_mul_hi_u32 v13, v4, v6
	v_mul_hi_u32 v12, v5, v10
	v_mul_lo_u32 v10, v5, v10
	v_mul_hi_u32 v14, v5, v6
	v_add_co_u32_e32 v9, vcc, v9, v11
	v_addc_co_u32_e32 v11, vcc, 0, v13, vcc
	v_mul_lo_u32 v6, v5, v6
	v_add_co_u32_e32 v9, vcc, v9, v10
	v_addc_co_u32_e32 v9, vcc, v11, v12, vcc
	v_addc_co_u32_e32 v10, vcc, 0, v14, vcc
	v_add_co_u32_e32 v6, vcc, v9, v6
	v_addc_co_u32_e32 v9, vcc, 0, v10, vcc
	v_add_co_u32_e32 v4, vcc, v4, v6
	v_addc_co_u32_e32 v5, vcc, v5, v9, vcc
	v_mul_lo_u32 v6, s0, v5
	v_mul_hi_u32 v9, s0, v4
	v_mul_lo_u32 v10, s1, v4
	v_mul_lo_u32 v11, s0, v4
	v_add_u32_e32 v6, v9, v6
	v_add_u32_e32 v6, v6, v10
	v_mul_lo_u32 v12, v4, v6
	v_mul_hi_u32 v13, v4, v11
	v_mul_hi_u32 v14, v4, v6
	;; [unrolled: 1-line block ×3, first 2 shown]
	v_mul_lo_u32 v11, v5, v11
	v_mul_hi_u32 v9, v5, v6
	v_add_co_u32_e32 v12, vcc, v13, v12
	v_addc_co_u32_e32 v13, vcc, 0, v14, vcc
	v_mul_lo_u32 v6, v5, v6
	v_add_co_u32_e32 v11, vcc, v12, v11
	v_addc_co_u32_e32 v10, vcc, v13, v10, vcc
	v_addc_co_u32_e32 v9, vcc, 0, v9, vcc
	v_add_co_u32_e32 v6, vcc, v10, v6
	v_addc_co_u32_e32 v9, vcc, 0, v9, vcc
	v_add_co_u32_e32 v6, vcc, v4, v6
	v_addc_co_u32_e32 v9, vcc, v5, v9, vcc
	v_mad_u64_u32 v[4:5], s[0:1], v7, v9, 0
	v_mul_hi_u32 v10, v7, v6
	v_add_co_u32_e32 v11, vcc, v10, v4
	v_addc_co_u32_e32 v12, vcc, 0, v5, vcc
	v_mad_u64_u32 v[4:5], s[0:1], v8, v6, 0
	v_mad_u64_u32 v[9:10], s[0:1], v8, v9, 0
	v_add_co_u32_e32 v4, vcc, v11, v4
	v_addc_co_u32_e32 v4, vcc, v12, v5, vcc
	v_addc_co_u32_e32 v5, vcc, 0, v10, vcc
	v_add_co_u32_e32 v9, vcc, v4, v9
	v_addc_co_u32_e32 v6, vcc, 0, v5, vcc
	v_mul_lo_u32 v10, s25, v9
	v_mul_lo_u32 v11, s24, v6
	v_mad_u64_u32 v[4:5], s[0:1], s24, v9, 0
	v_add3_u32 v5, v5, v11, v10
	v_sub_u32_e32 v10, v8, v5
	v_mov_b32_e32 v11, s25
	v_sub_co_u32_e32 v4, vcc, v7, v4
	v_subb_co_u32_e64 v10, s[0:1], v10, v11, vcc
	v_subrev_co_u32_e64 v11, s[0:1], s24, v4
	v_subbrev_co_u32_e64 v10, s[0:1], 0, v10, s[0:1]
	v_cmp_le_u32_e64 s[0:1], s25, v10
	v_cndmask_b32_e64 v12, 0, -1, s[0:1]
	v_cmp_le_u32_e64 s[0:1], s24, v11
	v_cndmask_b32_e64 v11, 0, -1, s[0:1]
	v_cmp_eq_u32_e64 s[0:1], s25, v10
	v_cndmask_b32_e64 v10, v12, v11, s[0:1]
	v_add_co_u32_e64 v11, s[0:1], 2, v9
	v_addc_co_u32_e64 v12, s[0:1], 0, v6, s[0:1]
	v_add_co_u32_e64 v13, s[0:1], 1, v9
	v_addc_co_u32_e64 v14, s[0:1], 0, v6, s[0:1]
	v_subb_co_u32_e32 v5, vcc, v8, v5, vcc
	v_cmp_ne_u32_e64 s[0:1], 0, v10
	v_cmp_le_u32_e32 vcc, s25, v5
	v_cndmask_b32_e64 v10, v14, v12, s[0:1]
	v_cndmask_b32_e64 v12, 0, -1, vcc
	v_cmp_le_u32_e32 vcc, s24, v4
	v_cndmask_b32_e64 v4, 0, -1, vcc
	v_cmp_eq_u32_e32 vcc, s25, v5
	v_cndmask_b32_e32 v4, v12, v4, vcc
	v_cmp_ne_u32_e32 vcc, 0, v4
	v_cndmask_b32_e64 v4, v13, v11, s[0:1]
	v_cndmask_b32_e32 v6, v6, v10, vcc
	v_cndmask_b32_e32 v5, v9, v4, vcc
.LBB0_4:                                ;   in Loop: Header=BB0_2 Depth=1
	s_andn2_saveexec_b64 s[0:1], s[26:27]
	s_cbranch_execz .LBB0_6
; %bb.5:                                ;   in Loop: Header=BB0_2 Depth=1
	v_cvt_f32_u32_e32 v4, s24
	s_sub_i32 s26, 0, s24
	v_rcp_iflag_f32_e32 v4, v4
	v_mul_f32_e32 v4, 0x4f7ffffe, v4
	v_cvt_u32_f32_e32 v4, v4
	v_mul_lo_u32 v5, s26, v4
	v_mul_hi_u32 v5, v4, v5
	v_add_u32_e32 v4, v4, v5
	v_mul_hi_u32 v4, v7, v4
	v_mul_lo_u32 v5, v4, s24
	v_add_u32_e32 v6, 1, v4
	v_sub_u32_e32 v5, v7, v5
	v_subrev_u32_e32 v9, s24, v5
	v_cmp_le_u32_e32 vcc, s24, v5
	v_cndmask_b32_e32 v5, v5, v9, vcc
	v_cndmask_b32_e32 v4, v4, v6, vcc
	v_add_u32_e32 v6, 1, v4
	v_cmp_le_u32_e32 vcc, s24, v5
	v_cndmask_b32_e32 v5, v4, v6, vcc
	v_mov_b32_e32 v6, v3
.LBB0_6:                                ;   in Loop: Header=BB0_2 Depth=1
	s_or_b64 exec, exec, s[0:1]
	v_mul_lo_u32 v4, v6, s24
	v_mul_lo_u32 v11, v5, s25
	v_mad_u64_u32 v[9:10], s[0:1], v5, s24, 0
	s_load_dwordx2 s[0:1], s[6:7], 0x0
	s_load_dwordx2 s[24:25], s[2:3], 0x0
	v_add3_u32 v4, v10, v11, v4
	v_sub_co_u32_e32 v7, vcc, v7, v9
	v_subb_co_u32_e32 v4, vcc, v8, v4, vcc
	s_waitcnt lgkmcnt(0)
	v_mul_lo_u32 v8, s0, v4
	v_mul_lo_u32 v9, s1, v7
	v_mad_u64_u32 v[43:44], s[0:1], s0, v7, v[43:44]
	s_add_u32 s22, s22, 1
	s_addc_u32 s23, s23, 0
	s_add_u32 s2, s2, 8
	v_mul_lo_u32 v4, s24, v4
	v_mul_lo_u32 v10, s25, v7
	v_mad_u64_u32 v[1:2], s[0:1], s24, v7, v[1:2]
	v_add3_u32 v44, v9, v44, v8
	s_addc_u32 s3, s3, 0
	v_mov_b32_e32 v7, s14
	s_add_u32 s6, s6, 8
	v_mov_b32_e32 v8, s15
	s_addc_u32 s7, s7, 0
	v_cmp_ge_u64_e32 vcc, s[22:23], v[7:8]
	s_add_u32 s20, s20, 8
	v_add3_u32 v2, v10, v2, v4
	s_addc_u32 s21, s21, 0
	s_cbranch_vccnz .LBB0_8
; %bb.7:                                ;   in Loop: Header=BB0_2 Depth=1
	v_mov_b32_e32 v8, v6
	v_mov_b32_e32 v7, v5
	s_branch .LBB0_2
.LBB0_8:
	s_load_dwordx2 s[0:1], s[4:5], 0x28
	s_mov_b32 s4, 0x5050506
	v_mul_hi_u32 v3, v0, s4
	s_lshl_b64 s[2:3], s[14:15], 3
	s_add_u32 s4, s18, s2
	s_waitcnt lgkmcnt(0)
	v_cmp_gt_u64_e32 vcc, s[0:1], v[5:6]
	v_mul_u32_u24_e32 v3, 51, v3
	v_sub_u32_e32 v3, v0, v3
	v_cmp_gt_u32_e64 s[0:1], 45, v3
	s_addc_u32 s5, s19, s3
	s_and_b64 s[14:15], vcc, s[0:1]
	v_mov_b32_e32 v30, 0
	v_mov_b32_e32 v29, 0
                                        ; implicit-def: $vgpr36
                                        ; implicit-def: $vgpr32
                                        ; implicit-def: $vgpr26
                                        ; implicit-def: $vgpr22
                                        ; implicit-def: $vgpr20
                                        ; implicit-def: $vgpr16
                                        ; implicit-def: $vgpr12
                                        ; implicit-def: $vgpr8
                                        ; implicit-def: $vgpr40
                                        ; implicit-def: $vgpr38
                                        ; implicit-def: $vgpr34
                                        ; implicit-def: $vgpr28
                                        ; implicit-def: $vgpr24
                                        ; implicit-def: $vgpr18
                                        ; implicit-def: $vgpr14
                                        ; implicit-def: $vgpr10
	s_and_saveexec_b64 s[6:7], s[14:15]
	s_cbranch_execz .LBB0_10
; %bb.9:
	s_add_u32 s2, s16, s2
	s_addc_u32 s3, s17, s3
	s_load_dwordx2 s[2:3], s[2:3], 0x0
	v_mov_b32_e32 v10, s9
	v_mov_b32_e32 v4, 0
	s_waitcnt lgkmcnt(0)
	v_mul_lo_u32 v0, s3, v5
	v_mul_lo_u32 v9, s2, v6
	v_mad_u64_u32 v[7:8], s[2:3], s2, v5, 0
	v_add3_u32 v8, v8, v9, v0
	v_lshlrev_b64 v[7:8], 3, v[7:8]
	v_add_co_u32_e64 v0, s[2:3], s8, v7
	v_addc_co_u32_e64 v9, s[2:3], v10, v8, s[2:3]
	v_lshlrev_b64 v[7:8], 3, v[43:44]
	v_add_co_u32_e64 v0, s[2:3], v0, v7
	v_addc_co_u32_e64 v9, s[2:3], v9, v8, s[2:3]
	;; [unrolled: 3-line block ×3, first 2 shown]
	s_movk_i32 s2, 0x1000
	v_add_co_u32_e64 v44, s[2:3], s2, v42
	global_load_dwordx2 v[29:30], v[42:43], off
	global_load_dwordx2 v[35:36], v[42:43], off offset:360
	global_load_dwordx2 v[31:32], v[42:43], off offset:720
	;; [unrolled: 1-line block ×7, first 2 shown]
	v_addc_co_u32_e64 v45, s[2:3], 0, v43, s[2:3]
	global_load_dwordx2 v[7:8], v[42:43], off offset:2880
	global_load_dwordx2 v[9:10], v[42:43], off offset:3240
	;; [unrolled: 1-line block ×9, first 2 shown]
.LBB0_10:
	s_or_b64 exec, exec, s[6:7]
	s_mov_b32 s2, 0xcccccccd
	v_mul_hi_u32 v0, v41, s2
	v_lshrrev_b32_e32 v0, 2, v0
	v_lshl_add_u32 v0, v0, 2, v0
	v_sub_u32_e32 v0, v41, v0
	v_mul_u32_u24_e32 v0, 0x2fd, v0
	v_lshlrev_b32_e32 v0, 2, v0
	s_and_saveexec_b64 s[2:3], s[0:1]
	s_cbranch_execz .LBB0_12
; %bb.11:
	s_waitcnt vmcnt(0)
	v_add_f32_e32 v62, v35, v39
	v_mul_f32_e32 v41, 0xbf7ba420, v62
	v_add_f32_e32 v63, v31, v37
	v_sub_f32_e32 v54, v36, v40
	v_mov_b32_e32 v4, v41
	v_mul_f32_e32 v42, 0x3f6eb680, v63
	v_fmac_f32_e32 v4, 0x3e3c28d5, v54
	v_sub_f32_e32 v57, v32, v38
	v_mov_b32_e32 v43, v42
	v_add_f32_e32 v4, v29, v4
	v_fmac_f32_e32 v43, 0xbeb8f4ab, v57
	v_add_f32_e32 v64, v25, v33
	v_add_f32_e32 v4, v4, v43
	v_mul_f32_e32 v43, 0xbf59a7d5, v64
	v_sub_f32_e32 v59, v26, v34
	v_mov_b32_e32 v44, v43
	v_fmac_f32_e32 v44, 0x3f06c442, v59
	v_add_f32_e32 v65, v21, v27
	v_add_f32_e32 v4, v4, v44
	v_mul_f32_e32 v44, 0x3f3d2fb0, v65
	v_sub_f32_e32 v60, v22, v28
	v_mov_b32_e32 v45, v44
	;; [unrolled: 6-line block ×3, first 2 shown]
	v_fmac_f32_e32 v46, 0x3f4c4adb, v61
	v_add_f32_e32 v67, v15, v17
	v_add_f32_e32 v4, v4, v46
	v_mul_f32_e32 v46, 0x3ee437d1, v67
	v_fmac_f32_e32 v41, 0xbe3c28d5, v54
	v_sub_f32_e32 v58, v16, v18
	v_mov_b32_e32 v47, v46
	v_add_f32_e32 v41, v29, v41
	v_fmac_f32_e32 v42, 0x3eb8f4ab, v57
	v_fmac_f32_e32 v47, 0xbf65296c, v58
	v_add_f32_e32 v68, v11, v13
	v_add_f32_e32 v41, v41, v42
	v_fmac_f32_e32 v43, 0xbf06c442, v59
	v_add_f32_e32 v4, v4, v47
	v_mul_f32_e32 v47, 0xbe8c1d8e, v68
	v_add_f32_e32 v41, v41, v43
	v_fmac_f32_e32 v44, 0x3f2c7751, v60
	v_sub_f32_e32 v56, v12, v14
	v_mov_b32_e32 v48, v47
	v_add_f32_e32 v41, v41, v44
	v_fmac_f32_e32 v45, 0xbf4c4adb, v61
	v_fmac_f32_e32 v48, 0x3f763a35, v56
	v_add_f32_e32 v69, v7, v9
	v_add_f32_e32 v41, v41, v45
	v_fmac_f32_e32 v46, 0x3f65296c, v58
	v_add_f32_e32 v4, v4, v48
	v_mul_f32_e32 v48, 0x3dbcf732, v69
	v_sub_f32_e32 v55, v8, v10
	v_add_f32_e32 v41, v41, v46
	v_fmac_f32_e32 v47, 0xbf763a35, v56
	v_mov_b32_e32 v49, v48
	v_add_f32_e32 v41, v41, v47
	v_fmac_f32_e32 v48, 0x3f7ee86f, v55
	v_mul_f32_e32 v43, 0xbf59a7d5, v62
	v_add_f32_e32 v42, v41, v48
	v_mov_b32_e32 v41, v43
	v_mul_f32_e32 v44, 0x3ee437d1, v63
	v_fmac_f32_e32 v41, 0x3f06c442, v54
	v_mov_b32_e32 v45, v44
	v_add_f32_e32 v41, v29, v41
	v_fmac_f32_e32 v45, 0xbf65296c, v57
	v_add_f32_e32 v41, v41, v45
	v_mul_f32_e32 v45, 0x3dbcf732, v64
	v_mov_b32_e32 v46, v45
	v_fmac_f32_e32 v46, 0x3f7ee86f, v59
	v_add_f32_e32 v41, v41, v46
	v_mul_f32_e32 v46, 0xbf1a4643, v65
	v_mov_b32_e32 v47, v46
	;; [unrolled: 4-line block ×3, first 2 shown]
	v_fmac_f32_e32 v48, 0x3eb8f4ab, v61
	v_fmac_f32_e32 v49, 0xbf7ee86f, v55
	v_add_f32_e32 v41, v41, v48
	v_mul_f32_e32 v48, 0xbf7ba420, v67
	v_fmac_f32_e32 v43, 0xbf06c442, v54
	v_add_f32_e32 v4, v4, v49
	v_mov_b32_e32 v49, v48
	v_add_f32_e32 v43, v29, v43
	v_fmac_f32_e32 v44, 0x3f65296c, v57
	v_fmac_f32_e32 v49, 0x3e3c28d5, v58
	v_add_f32_e32 v43, v43, v44
	v_fmac_f32_e32 v45, 0xbf7ee86f, v59
	v_add_f32_e32 v41, v41, v49
	v_mul_f32_e32 v49, 0x3f3d2fb0, v68
	v_add_f32_e32 v43, v43, v45
	v_fmac_f32_e32 v46, 0x3f4c4adb, v60
	v_mov_b32_e32 v50, v49
	v_add_f32_e32 v43, v43, v46
	v_fmac_f32_e32 v47, 0xbeb8f4ab, v61
	v_fmac_f32_e32 v50, 0xbf2c7751, v56
	v_add_f32_e32 v43, v43, v47
	v_fmac_f32_e32 v48, 0xbe3c28d5, v58
	v_add_f32_e32 v41, v41, v50
	v_mul_f32_e32 v50, 0xbe8c1d8e, v69
	v_add_f32_e32 v43, v43, v48
	v_fmac_f32_e32 v49, 0x3f2c7751, v56
	v_mov_b32_e32 v51, v50
	v_add_f32_e32 v43, v43, v49
	v_fmac_f32_e32 v50, 0xbf763a35, v55
	v_add_f32_e32 v46, v43, v50
	v_mul_f32_e32 v43, 0xbf1a4643, v62
	v_mov_b32_e32 v44, v43
	v_mul_f32_e32 v45, 0xbe8c1d8e, v63
	v_fmac_f32_e32 v44, 0x3f4c4adb, v54
	v_mov_b32_e32 v47, v45
	v_add_f32_e32 v44, v29, v44
	v_fmac_f32_e32 v47, 0xbf763a35, v57
	v_add_f32_e32 v44, v44, v47
	v_mul_f32_e32 v47, 0x3f6eb680, v64
	v_mov_b32_e32 v48, v47
	v_fmac_f32_e32 v48, 0x3eb8f4ab, v59
	v_add_f32_e32 v44, v44, v48
	v_mul_f32_e32 v48, 0xbf59a7d5, v65
	v_mov_b32_e32 v49, v48
	v_fmac_f32_e32 v49, 0x3f06c442, v60
	v_add_f32_e32 v44, v44, v49
	v_mul_f32_e32 v49, 0x3dbcf732, v66
	v_mov_b32_e32 v50, v49
	v_fmac_f32_e32 v50, 0xbf7ee86f, v61
	v_fmac_f32_e32 v51, 0x3f763a35, v55
	v_add_f32_e32 v44, v44, v50
	v_mul_f32_e32 v50, 0x3f3d2fb0, v67
	v_fmac_f32_e32 v43, 0xbf4c4adb, v54
	v_add_f32_e32 v41, v41, v51
	v_mov_b32_e32 v51, v50
	v_add_f32_e32 v43, v29, v43
	v_fmac_f32_e32 v45, 0x3f763a35, v57
	v_fmac_f32_e32 v51, 0x3f2c7751, v58
	v_add_f32_e32 v43, v43, v45
	v_fmac_f32_e32 v47, 0xbeb8f4ab, v59
	v_add_f32_e32 v44, v44, v51
	v_mul_f32_e32 v51, 0xbf7ba420, v68
	v_add_f32_e32 v43, v43, v47
	v_fmac_f32_e32 v48, 0xbf06c442, v60
	v_mov_b32_e32 v52, v51
	v_add_f32_e32 v43, v43, v48
	v_fmac_f32_e32 v49, 0x3f7ee86f, v61
	v_fmac_f32_e32 v52, 0x3e3c28d5, v56
	v_add_f32_e32 v43, v43, v49
	v_fmac_f32_e32 v50, 0xbf2c7751, v58
	v_add_f32_e32 v44, v44, v52
	v_mul_f32_e32 v52, 0x3ee437d1, v69
	v_add_f32_e32 v43, v43, v50
	v_fmac_f32_e32 v51, 0xbe3c28d5, v56
	v_mov_b32_e32 v53, v52
	v_add_f32_e32 v43, v43, v51
	v_fmac_f32_e32 v52, 0x3f65296c, v55
	v_mul_f32_e32 v45, 0xbe8c1d8e, v62
	v_add_f32_e32 v48, v43, v52
	v_mov_b32_e32 v43, v45
	v_mul_f32_e32 v47, 0xbf59a7d5, v63
	v_fmac_f32_e32 v43, 0x3f763a35, v54
	v_mov_b32_e32 v49, v47
	v_add_f32_e32 v43, v29, v43
	v_fmac_f32_e32 v49, 0xbf06c442, v57
	v_add_f32_e32 v43, v43, v49
	v_mul_f32_e32 v49, 0x3f3d2fb0, v64
	v_mov_b32_e32 v50, v49
	v_fmac_f32_e32 v50, 0xbf2c7751, v59
	v_add_f32_e32 v43, v43, v50
	v_mul_f32_e32 v50, 0x3ee437d1, v65
	v_mov_b32_e32 v51, v50
	v_fmac_f32_e32 v51, 0x3f65296c, v60
	v_add_f32_e32 v43, v43, v51
	v_mul_f32_e32 v51, 0xbf7ba420, v66
	v_mov_b32_e32 v52, v51
	v_fmac_f32_e32 v52, 0x3e3c28d5, v61
	v_fmac_f32_e32 v53, 0xbf65296c, v55
	v_add_f32_e32 v43, v43, v52
	v_mul_f32_e32 v52, 0x3dbcf732, v67
	v_fmac_f32_e32 v45, 0xbf763a35, v54
	v_add_f32_e32 v44, v44, v53
	v_mov_b32_e32 v53, v52
	v_add_f32_e32 v45, v29, v45
	v_fmac_f32_e32 v47, 0x3f06c442, v57
	v_fmac_f32_e32 v53, 0xbf7ee86f, v58
	v_add_f32_e32 v45, v45, v47
	v_fmac_f32_e32 v49, 0x3f2c7751, v59
	v_add_f32_e32 v43, v43, v53
	v_mul_f32_e32 v53, 0x3f6eb680, v68
	v_add_f32_e32 v45, v45, v49
	v_fmac_f32_e32 v50, 0xbf65296c, v60
	v_mov_b32_e32 v70, v53
	v_add_f32_e32 v45, v45, v50
	v_fmac_f32_e32 v51, 0xbe3c28d5, v61
	v_fmac_f32_e32 v70, 0x3eb8f4ab, v56
	v_add_f32_e32 v45, v45, v51
	v_fmac_f32_e32 v52, 0x3f7ee86f, v58
	v_add_f32_e32 v43, v43, v70
	v_mul_f32_e32 v70, 0xbf1a4643, v69
	v_add_f32_e32 v45, v45, v52
	v_fmac_f32_e32 v53, 0xbeb8f4ab, v56
	v_mov_b32_e32 v71, v70
	v_add_f32_e32 v45, v45, v53
	v_fmac_f32_e32 v70, 0xbf4c4adb, v55
	v_mul_f32_e32 v47, 0x3dbcf732, v62
	v_add_f32_e32 v50, v45, v70
	;; [unrolled: 48-line block ×4, first 2 shown]
	v_mov_b32_e32 v49, v53
	v_mul_f32_e32 v70, 0x3dbcf732, v63
	v_fmac_f32_e32 v53, 0xbf2c7751, v54
	v_fmac_f32_e32 v49, 0x3f2c7751, v54
	v_mov_b32_e32 v71, v70
	v_add_f32_e32 v53, v29, v53
	v_fmac_f32_e32 v70, 0xbf7ee86f, v57
	v_add_f32_e32 v49, v29, v49
	v_fmac_f32_e32 v71, 0x3f7ee86f, v57
	v_add_f32_e32 v53, v53, v70
	v_mul_f32_e32 v70, 0x3f6eb680, v62
	v_add_f32_e32 v49, v49, v71
	v_mul_f32_e32 v71, 0xbf1a4643, v64
	v_mov_b32_e32 v62, v70
	v_mov_b32_e32 v72, v71
	v_fmac_f32_e32 v62, 0x3eb8f4ab, v54
	v_fmac_f32_e32 v70, 0xbeb8f4ab, v54
	;; [unrolled: 1-line block ×3, first 2 shown]
	v_add_f32_e32 v62, v29, v62
	v_add_f32_e32 v54, v29, v70
	v_add_f32_e32 v29, v29, v35
	v_add_f32_e32 v49, v49, v72
	v_mul_f32_e32 v72, 0xbf7ba420, v65
	v_fmac_f32_e32 v71, 0xbf4c4adb, v59
	v_mul_f32_e32 v63, 0x3f3d2fb0, v63
	v_add_f32_e32 v29, v29, v31
	v_mov_b32_e32 v73, v72
	v_add_f32_e32 v53, v53, v71
	v_mov_b32_e32 v71, v63
	v_add_f32_e32 v29, v29, v25
	v_fmac_f32_e32 v73, 0x3e3c28d5, v60
	v_fmac_f32_e32 v71, 0x3f2c7751, v57
	v_mul_f32_e32 v64, 0x3ee437d1, v64
	v_add_f32_e32 v29, v29, v21
	v_add_f32_e32 v49, v49, v73
	v_mul_f32_e32 v73, 0xbf59a7d5, v66
	v_add_f32_e32 v62, v62, v71
	v_mov_b32_e32 v71, v64
	v_add_f32_e32 v29, v29, v19
	v_mov_b32_e32 v74, v73
	v_fmac_f32_e32 v71, 0x3f65296c, v59
	v_mul_f32_e32 v65, 0x3dbcf732, v65
	v_add_f32_e32 v29, v29, v15
	v_fmac_f32_e32 v74, 0xbf06c442, v61
	v_add_f32_e32 v62, v62, v71
	v_mov_b32_e32 v71, v65
	v_add_f32_e32 v29, v29, v11
	v_fmac_f32_e32 v75, 0x3f06c442, v55
	v_add_f32_e32 v49, v49, v74
	v_mul_f32_e32 v74, 0xbe8c1d8e, v67
	v_fmac_f32_e32 v71, 0x3f7ee86f, v60
	v_mul_f32_e32 v66, 0xbe8c1d8e, v66
	v_add_f32_e32 v29, v29, v7
	v_add_f32_e32 v47, v47, v75
	v_mov_b32_e32 v75, v74
	v_add_f32_e32 v62, v62, v71
	v_mov_b32_e32 v71, v66
	v_add_f32_e32 v29, v29, v9
	v_fmac_f32_e32 v75, 0xbf763a35, v58
	v_fmac_f32_e32 v71, 0x3f763a35, v61
	v_mul_f32_e32 v67, 0xbf1a4643, v67
	v_fmac_f32_e32 v63, 0xbf2c7751, v57
	v_add_f32_e32 v29, v13, v29
	v_add_f32_e32 v49, v49, v75
	v_mul_f32_e32 v75, 0x3ee437d1, v68
	v_add_f32_e32 v62, v62, v71
	v_mov_b32_e32 v71, v67
	v_add_f32_e32 v54, v54, v63
	v_fmac_f32_e32 v64, 0xbf65296c, v59
	v_add_f32_e32 v29, v17, v29
	v_mov_b32_e32 v76, v75
	v_fmac_f32_e32 v71, 0x3f4c4adb, v58
	v_mul_f32_e32 v68, 0xbf59a7d5, v68
	v_add_f32_e32 v54, v54, v64
	v_fmac_f32_e32 v65, 0xbf7ee86f, v60
	v_add_f32_e32 v29, v23, v29
	v_fmac_f32_e32 v76, 0xbf65296c, v56
	v_fmac_f32_e32 v72, 0xbe3c28d5, v60
	v_add_f32_e32 v62, v62, v71
	v_mov_b32_e32 v71, v68
	v_add_f32_e32 v54, v54, v65
	v_fmac_f32_e32 v66, 0xbf763a35, v61
	v_add_f32_e32 v29, v27, v29
	v_add_f32_e32 v49, v49, v76
	v_mul_f32_e32 v76, 0x3f6eb680, v69
	v_add_f32_e32 v53, v53, v72
	v_fmac_f32_e32 v73, 0x3f06c442, v61
	v_fmac_f32_e32 v71, 0x3f06c442, v56
	v_mul_f32_e32 v69, 0xbf7ba420, v69
	v_add_f32_e32 v54, v54, v66
	v_fmac_f32_e32 v67, 0xbf4c4adb, v58
	v_add_f32_e32 v29, v33, v29
	v_mov_b32_e32 v77, v76
	v_add_f32_e32 v53, v53, v73
	v_fmac_f32_e32 v74, 0x3f763a35, v58
	v_add_f32_e32 v62, v62, v71
	v_mov_b32_e32 v71, v69
	v_add_f32_e32 v54, v54, v67
	v_fmac_f32_e32 v68, 0xbf06c442, v56
	v_add_f32_e32 v29, v37, v29
	v_fmac_f32_e32 v77, 0xbeb8f4ab, v55
	v_add_f32_e32 v53, v53, v74
	v_fmac_f32_e32 v75, 0x3f65296c, v56
	v_fmac_f32_e32 v76, 0x3eb8f4ab, v55
	v_fmac_f32_e32 v71, 0x3e3c28d5, v55
	v_add_f32_e32 v54, v54, v68
	v_fmac_f32_e32 v69, 0xbe3c28d5, v55
	v_add_f32_e32 v55, v39, v29
	v_mul_u32_u24_e32 v29, 0x44, v3
	v_add_f32_e32 v53, v53, v75
	v_add_f32_e32 v54, v54, v69
	v_add3_u32 v29, 0, v29, v0
	v_add_f32_e32 v49, v49, v77
	v_add_f32_e32 v53, v53, v76
	v_add_f32_e32 v62, v62, v71
	ds_write2_b32 v29, v55, v54 offset1:1
	ds_write2_b32 v29, v53, v52 offset0:2 offset1:3
	ds_write2_b32 v29, v51, v50 offset0:4 offset1:5
	;; [unrolled: 1-line block ×7, first 2 shown]
	ds_write_b32 v29, v62 offset:64
.LBB0_12:
	s_or_b64 exec, exec, s[2:3]
	s_waitcnt vmcnt(16)
	v_lshlrev_b32_e32 v29, 2, v3
	v_add_u32_e32 v60, 0, v29
	v_add_u32_e32 v55, v60, v0
	v_add3_u32 v4, 0, v0, v29
	v_add_u32_e32 v58, 0x200, v55
	v_add_u32_e32 v56, 0x400, v55
	;; [unrolled: 1-line block ×3, first 2 shown]
	s_waitcnt vmcnt(0) lgkmcnt(0)
	s_barrier
	ds_read_b32 v59, v4
	ds_read2_b32 v[53:54], v58 offset0:127 offset1:178
	ds_read2_b32 v[45:46], v56 offset0:203 offset1:254
	;; [unrolled: 1-line block ×7, first 2 shown]
	s_waitcnt lgkmcnt(0)
	s_barrier
	s_and_saveexec_b64 s[2:3], s[0:1]
	s_cbranch_execz .LBB0_14
; %bb.13:
	v_add_f32_e32 v61, v30, v36
	v_add_f32_e32 v61, v61, v32
	;; [unrolled: 1-line block ×14, first 2 shown]
	v_sub_f32_e32 v35, v35, v39
	v_add_f32_e32 v61, v38, v61
	v_add_f32_e32 v36, v36, v40
	v_mul_f32_e32 v39, 0xbeb8f4ab, v35
	s_mov_b32 s8, 0x3f6eb680
	v_mul_f32_e32 v62, 0xbf2c7751, v35
	s_mov_b32 s6, 0x3f3d2fb0
	;; [unrolled: 2-line block ×8, first 2 shown]
	v_add_f32_e32 v61, v40, v61
	v_fma_f32 v40, v36, s8, -v39
	v_fmac_f32_e32 v39, 0x3f6eb680, v36
	v_fma_f32 v63, v36, s6, -v62
	v_fmac_f32_e32 v62, 0x3f3d2fb0, v36
	;; [unrolled: 2-line block ×8, first 2 shown]
	v_sub_f32_e32 v31, v31, v37
	v_add_f32_e32 v40, v30, v40
	v_add_f32_e32 v39, v30, v39
	;; [unrolled: 1-line block ×17, first 2 shown]
	v_mul_f32_e32 v35, 0xbf2c7751, v31
	v_fma_f32 v36, v32, s6, -v35
	v_fmac_f32_e32 v35, 0x3f3d2fb0, v32
	v_mul_f32_e32 v37, 0xbf7ee86f, v31
	v_add_f32_e32 v35, v39, v35
	v_fma_f32 v38, v32, s0, -v37
	v_fmac_f32_e32 v37, 0x3dbcf732, v32
	v_mul_f32_e32 v39, 0xbf4c4adb, v31
	v_add_f32_e32 v36, v40, v36
	v_add_f32_e32 v37, v62, v37
	v_fma_f32 v40, v32, s9, -v39
	v_fmac_f32_e32 v39, 0xbf1a4643, v32
	v_mul_f32_e32 v62, 0xbe3c28d5, v31
	v_add_f32_e32 v38, v63, v38
	;; [unrolled: 5-line block ×4, first 2 shown]
	v_add_f32_e32 v64, v68, v64
	v_fma_f32 v67, v32, s7, -v66
	v_fmac_f32_e32 v66, 0xbe8c1d8e, v32
	v_mul_f32_e32 v68, 0x3f65296c, v31
	v_mul_f32_e32 v31, 0x3eb8f4ab, v31
	v_add_f32_e32 v66, v70, v66
	v_fma_f32 v70, v32, s8, -v31
	v_fmac_f32_e32 v31, 0x3f6eb680, v32
	v_sub_f32_e32 v25, v25, v33
	v_add_f32_e32 v30, v30, v31
	v_add_f32_e32 v26, v26, v34
	v_mul_f32_e32 v31, 0xbf65296c, v25
	v_add_f32_e32 v65, v69, v65
	v_fma_f32 v69, v32, s1, -v68
	v_fmac_f32_e32 v68, 0x3ee437d1, v32
	v_fma_f32 v32, v26, s1, -v31
	v_fmac_f32_e32 v31, 0x3ee437d1, v26
	v_mul_f32_e32 v33, 0xbf4c4adb, v25
	v_add_f32_e32 v31, v35, v31
	v_fma_f32 v34, v26, s9, -v33
	v_fmac_f32_e32 v33, 0xbf1a4643, v26
	v_mul_f32_e32 v35, 0x3e3c28d5, v25
	v_add_f32_e32 v32, v36, v32
	v_add_f32_e32 v33, v37, v33
	v_fma_f32 v36, v26, s15, -v35
	v_fmac_f32_e32 v35, 0xbf7ba420, v26
	v_mul_f32_e32 v37, 0x3f763a35, v25
	v_add_f32_e32 v34, v38, v34
	;; [unrolled: 5-line block ×4, first 2 shown]
	v_add_f32_e32 v39, v64, v39
	v_fma_f32 v63, v26, s8, -v62
	v_fmac_f32_e32 v62, 0x3f6eb680, v26
	v_mul_f32_e32 v64, 0xbf7ee86f, v25
	v_mul_f32_e32 v25, 0xbf06c442, v25
	v_sub_f32_e32 v21, v21, v27
	v_add_f32_e32 v40, v65, v40
	v_add_f32_e32 v62, v66, v62
	v_fma_f32 v65, v26, s0, -v64
	v_fmac_f32_e32 v64, 0x3dbcf732, v26
	v_fma_f32 v66, v26, s14, -v25
	v_fmac_f32_e32 v25, 0xbf59a7d5, v26
	v_add_f32_e32 v22, v22, v28
	v_mul_f32_e32 v26, 0xbf7ee86f, v21
	v_fma_f32 v27, v22, s0, -v26
	v_fmac_f32_e32 v26, 0x3dbcf732, v22
	v_mul_f32_e32 v28, 0xbe3c28d5, v21
	v_add_f32_e32 v25, v30, v25
	v_add_f32_e32 v26, v31, v26
	v_fma_f32 v30, v22, s15, -v28
	v_fmac_f32_e32 v28, 0xbf7ba420, v22
	v_mul_f32_e32 v31, 0x3f763a35, v21
	v_add_f32_e32 v27, v32, v27
	v_add_f32_e32 v28, v33, v28
	;; [unrolled: 5-line block ×5, first 2 shown]
	v_fma_f32 v38, v22, s14, -v37
	v_fmac_f32_e32 v37, 0xbf59a7d5, v22
	v_mul_f32_e32 v39, 0x3f4c4adb, v21
	v_mul_f32_e32 v21, 0x3f2c7751, v21
	v_sub_f32_e32 v19, v19, v23
	v_add_f32_e32 v36, v40, v36
	v_add_f32_e32 v37, v62, v37
	v_fma_f32 v40, v22, s9, -v39
	v_fmac_f32_e32 v39, 0xbf1a4643, v22
	v_fma_f32 v62, v22, s6, -v21
	v_fmac_f32_e32 v21, 0x3f3d2fb0, v22
	v_add_f32_e32 v20, v20, v24
	v_mul_f32_e32 v22, 0xbf763a35, v19
	v_fma_f32 v23, v20, s7, -v22
	v_fmac_f32_e32 v22, 0xbe8c1d8e, v20
	v_mul_f32_e32 v24, 0x3f06c442, v19
	v_add_f32_e32 v21, v25, v21
	v_add_f32_e32 v22, v26, v22
	v_fma_f32 v25, v20, s14, -v24
	v_fmac_f32_e32 v24, 0xbf59a7d5, v20
	v_mul_f32_e32 v26, 0x3f2c7751, v19
	v_add_f32_e32 v23, v27, v23
	v_add_f32_e32 v24, v28, v24
	v_fma_f32 v27, v20, s6, -v26
	v_fmac_f32_e32 v26, 0x3f3d2fb0, v20
	v_mul_f32_e32 v28, 0xbf65296c, v19
	v_add_f32_e32 v25, v30, v25
	v_add_f32_e32 v26, v31, v26
	v_fma_f32 v30, v20, s1, -v28
	v_fmac_f32_e32 v28, 0x3ee437d1, v20
	v_mul_f32_e32 v31, 0xbe3c28d5, v19
	v_add_f32_e32 v27, v32, v27
	v_add_f32_e32 v28, v33, v28
	v_fma_f32 v32, v20, s15, -v31
	v_fmac_f32_e32 v31, 0xbf7ba420, v20
	v_mul_f32_e32 v33, 0x3f7ee86f, v19
	v_sub_f32_e32 v15, v15, v17
	v_add_f32_e32 v30, v34, v30
	v_add_f32_e32 v31, v35, v31
	v_fma_f32 v34, v20, s0, -v33
	v_fmac_f32_e32 v33, 0x3dbcf732, v20
	v_mul_f32_e32 v35, 0xbeb8f4ab, v19
	v_mul_f32_e32 v19, 0xbf4c4adb, v19
	v_add_f32_e32 v16, v16, v18
	v_mul_f32_e32 v17, 0xbf4c4adb, v15
	v_add_f32_e32 v32, v36, v32
	v_add_f32_e32 v33, v37, v33
	v_fma_f32 v36, v20, s8, -v35
	v_fmac_f32_e32 v35, 0x3f6eb680, v20
	v_fma_f32 v37, v20, s9, -v19
	v_fmac_f32_e32 v19, 0xbf1a4643, v20
	v_fma_f32 v18, v16, s9, -v17
	v_fmac_f32_e32 v17, 0xbf1a4643, v16
	v_mul_f32_e32 v20, 0x3f763a35, v15
	v_add_f32_e32 v19, v21, v19
	v_add_f32_e32 v17, v22, v17
	v_fma_f32 v21, v16, s7, -v20
	v_fmac_f32_e32 v20, 0xbe8c1d8e, v16
	v_mul_f32_e32 v22, 0xbeb8f4ab, v15
	v_add_f32_e32 v18, v23, v18
	v_add_f32_e32 v20, v24, v20
	v_fma_f32 v23, v16, s8, -v22
	v_fmac_f32_e32 v22, 0x3f6eb680, v16
	v_mul_f32_e32 v24, 0xbf06c442, v15
	v_add_f32_e32 v21, v25, v21
	v_add_f32_e32 v22, v26, v22
	v_fma_f32 v25, v16, s14, -v24
	v_fmac_f32_e32 v24, 0xbf59a7d5, v16
	v_mul_f32_e32 v26, 0x3f7ee86f, v15
	v_add_f32_e32 v23, v27, v23
	v_add_f32_e32 v24, v28, v24
	v_fma_f32 v27, v16, s0, -v26
	v_fmac_f32_e32 v26, 0x3dbcf732, v16
	v_mul_f32_e32 v28, 0xbf2c7751, v15
	v_sub_f32_e32 v11, v11, v13
	v_add_f32_e32 v25, v30, v25
	v_add_f32_e32 v26, v31, v26
	v_fma_f32 v30, v16, s6, -v28
	v_fmac_f32_e32 v28, 0x3f3d2fb0, v16
	v_mul_f32_e32 v31, 0xbe3c28d5, v15
	v_mul_f32_e32 v15, 0x3f65296c, v15
	v_add_f32_e32 v12, v12, v14
	v_mul_f32_e32 v13, 0xbf06c442, v11
	v_add_f32_e32 v27, v32, v27
	v_add_f32_e32 v28, v33, v28
	v_fma_f32 v32, v16, s15, -v31
	v_fmac_f32_e32 v31, 0xbf7ba420, v16
	v_fma_f32 v33, v16, s1, -v15
	v_fmac_f32_e32 v15, 0x3ee437d1, v16
	;; [unrolled: 38-line block ×3, first 2 shown]
	v_fma_f32 v10, v8, s15, -v9
	v_fmac_f32_e32 v9, 0xbf7ba420, v8
	v_mul_f32_e32 v12, 0x3eb8f4ab, v7
	v_add_f32_e32 v10, v14, v10
	v_add_f32_e32 v9, v13, v9
	v_fma_f32 v13, v8, s8, -v12
	v_fmac_f32_e32 v12, 0x3f6eb680, v8
	v_mul_f32_e32 v14, 0xbf06c442, v7
	v_add_f32_e32 v67, v71, v67
	v_add_f32_e32 v69, v73, v69
	v_add_f32_e32 v68, v72, v68
	v_add_f32_e32 v70, v74, v70
	v_add_f32_e32 v11, v15, v11
	v_add_f32_e32 v12, v16, v12
	v_fma_f32 v15, v8, s14, -v14
	v_fmac_f32_e32 v14, 0xbf59a7d5, v8
	v_mul_f32_e32 v16, 0x3f2c7751, v7
	v_add_f32_e32 v63, v67, v63
	v_add_f32_e32 v65, v69, v65
	v_add_f32_e32 v64, v68, v64
	v_add_f32_e32 v66, v70, v66
	v_add_f32_e32 v13, v17, v13
	v_add_f32_e32 v14, v18, v14
	v_fma_f32 v17, v8, s6, -v16
	v_fmac_f32_e32 v16, 0x3f3d2fb0, v8
	v_mul_f32_e32 v18, 0xbf4c4adb, v7
	v_add_f32_e32 v38, v63, v38
	v_add_f32_e32 v40, v65, v40
	v_add_f32_e32 v39, v64, v39
	v_add_f32_e32 v62, v66, v62
	v_add_f32_e32 v15, v19, v15
	v_add_f32_e32 v16, v20, v16
	v_fma_f32 v19, v8, s9, -v18
	v_fmac_f32_e32 v18, 0xbf1a4643, v8
	v_mul_f32_e32 v20, 0x3f65296c, v7
	v_add_f32_e32 v34, v38, v34
	v_add_f32_e32 v36, v40, v36
	v_add_f32_e32 v35, v39, v35
	v_add_f32_e32 v37, v62, v37
	v_add_f32_e32 v17, v21, v17
	v_add_f32_e32 v18, v22, v18
	v_fma_f32 v21, v8, s1, -v20
	v_fmac_f32_e32 v20, 0x3ee437d1, v8
	v_mul_f32_e32 v22, 0xbf763a35, v7
	v_mul_f32_e32 v7, 0x3f7ee86f, v7
	v_add_f32_e32 v30, v34, v30
	v_add_f32_e32 v32, v36, v32
	;; [unrolled: 1-line block ×6, first 2 shown]
	v_fma_f32 v23, v8, s7, -v22
	v_fmac_f32_e32 v22, 0xbe8c1d8e, v8
	v_fma_f32 v24, v8, s0, -v7
	v_fmac_f32_e32 v7, 0x3dbcf732, v8
	v_lshlrev_b32_e32 v8, 6, v3
	v_add_f32_e32 v25, v30, v25
	v_add_f32_e32 v27, v32, v27
	;; [unrolled: 1-line block ×4, first 2 shown]
	v_add3_u32 v8, v60, v8, v0
	v_add_f32_e32 v21, v25, v21
	v_add_f32_e32 v23, v27, v23
	;; [unrolled: 1-line block ×5, first 2 shown]
	ds_write2_b32 v8, v61, v10 offset1:1
	ds_write2_b32 v8, v13, v15 offset0:2 offset1:3
	ds_write2_b32 v8, v17, v19 offset0:4 offset1:5
	;; [unrolled: 1-line block ×7, first 2 shown]
	ds_write_b32 v8, v9 offset:64
.LBB0_14:
	s_or_b64 exec, exec, s[2:3]
	s_movk_i32 s0, 0xf1
	v_add_u32_e32 v23, 0x99, v3
	v_mul_lo_u16_sdwa v20, v23, s0 dst_sel:DWORD dst_unused:UNUSED_PAD src0_sel:BYTE_0 src1_sel:DWORD
	v_lshrrev_b16_e32 v71, 12, v20
	v_add_u32_e32 v24, 51, v3
	v_mul_lo_u16_sdwa v7, v3, s0 dst_sel:DWORD dst_unused:UNUSED_PAD src0_sel:BYTE_0 src1_sel:DWORD
	v_mul_lo_u16_e32 v20, 17, v71
	v_add_u32_e32 v22, 0x66, v3
	v_lshrrev_b16_e32 v40, 12, v7
	v_mov_b32_e32 v19, 4
	v_mul_lo_u16_sdwa v8, v24, s0 dst_sel:DWORD dst_unused:UNUSED_PAD src0_sel:BYTE_0 src1_sel:DWORD
	v_sub_u16_e32 v72, v23, v20
	v_mul_lo_u16_e32 v7, 17, v40
	v_lshrrev_b16_e32 v67, 12, v8
	v_add_u32_e32 v21, 0xcc, v3
	v_mul_lo_u16_sdwa v15, v22, s0 dst_sel:DWORD dst_unused:UNUSED_PAD src0_sel:BYTE_0 src1_sel:DWORD
	v_lshlrev_b32_sdwa v20, v19, v72 dst_sel:DWORD dst_unused:UNUSED_PAD src0_sel:DWORD src1_sel:BYTE_0
	s_load_dwordx2 s[2:3], s[4:5], 0x0
	s_waitcnt lgkmcnt(0)
	s_barrier
	v_sub_u16_e32 v66, v3, v7
	v_mul_lo_u16_e32 v11, 17, v67
	v_lshrrev_b16_e32 v69, 12, v15
	global_load_dwordx4 v[25:28], v20, s[12:13]
	v_mul_lo_u16_sdwa v20, v21, s0 dst_sel:DWORD dst_unused:UNUSED_PAD src0_sel:BYTE_0 src1_sel:DWORD
	v_lshlrev_b32_sdwa v7, v19, v66 dst_sel:DWORD dst_unused:UNUSED_PAD src0_sel:DWORD src1_sel:BYTE_0
	v_sub_u16_e32 v68, v24, v11
	v_mul_lo_u16_e32 v15, 17, v69
	v_lshrrev_b16_e32 v73, 12, v20
	global_load_dwordx4 v[7:10], v7, s[12:13]
	v_lshlrev_b32_sdwa v11, v19, v68 dst_sel:DWORD dst_unused:UNUSED_PAD src0_sel:DWORD src1_sel:BYTE_0
	global_load_dwordx4 v[11:14], v11, s[12:13]
	v_sub_u16_e32 v70, v22, v15
	v_mul_lo_u16_e32 v20, 17, v73
	v_lshlrev_b32_sdwa v15, v19, v70 dst_sel:DWORD dst_unused:UNUSED_PAD src0_sel:DWORD src1_sel:BYTE_0
	v_sub_u16_e32 v74, v21, v20
	global_load_dwordx4 v[15:18], v15, s[12:13]
	v_lshlrev_b32_sdwa v19, v19, v74 dst_sel:DWORD dst_unused:UNUSED_PAD src0_sel:DWORD src1_sel:BYTE_0
	global_load_dwordx4 v[30:33], v19, s[12:13]
	ds_read_b32 v75, v4
	ds_read2_b32 v[19:20], v58 offset0:127 offset1:178
	ds_read2_b32 v[34:35], v56 offset0:203 offset1:254
	;; [unrolled: 1-line block ×7, first 2 shown]
	s_movk_i32 s0, 0xcc
	s_waitcnt vmcnt(0) lgkmcnt(0)
	s_barrier
	v_mul_f32_e32 v76, v19, v8
	v_mul_f32_e32 v8, v53, v8
	;; [unrolled: 1-line block ×6, first 2 shown]
	v_fmac_f32_e32 v76, v53, v7
	v_fma_f32 v7, v19, v7, -v8
	v_fmac_f32_e32 v77, v46, v9
	v_fma_f32 v8, v35, v9, -v10
	v_mul_f32_e32 v9, v38, v14
	v_mul_f32_e32 v10, v51, v14
	;; [unrolled: 1-line block ×4, first 2 shown]
	v_fmac_f32_e32 v78, v54, v11
	v_mul_f32_e32 v19, v39, v18
	v_mul_f32_e32 v18, v52, v18
	v_fma_f32 v11, v20, v11, -v12
	v_mul_f32_e32 v12, v61, v26
	v_mul_f32_e32 v20, v50, v26
	v_fmac_f32_e32 v9, v51, v13
	v_fma_f32 v10, v38, v13, -v10
	v_mul_f32_e32 v13, v64, v28
	v_mul_f32_e32 v26, v47, v28
	;; [unrolled: 1-line block ×4, first 2 shown]
	v_fmac_f32_e32 v14, v49, v15
	v_fma_f32 v15, v60, v15, -v16
	v_fma_f32 v16, v39, v17, -v18
	v_fmac_f32_e32 v13, v47, v27
	v_fma_f32 v18, v64, v27, -v26
	v_add_f32_e32 v27, v76, v77
	v_fmac_f32_e32 v19, v52, v17
	v_fma_f32 v17, v61, v25, -v20
	v_fma_f32 v20, v34, v30, -v31
	v_add_f32_e32 v26, v59, v76
	v_fmac_f32_e32 v59, -0.5, v27
	v_add_f32_e32 v31, v78, v9
	v_mul_f32_e32 v35, v65, v33
	v_mul_f32_e32 v33, v48, v33
	v_fmac_f32_e32 v28, v45, v30
	v_sub_f32_e32 v27, v7, v8
	v_mov_b32_e32 v30, v59
	v_fma_f32 v31, -0.5, v31, v43
	v_fmac_f32_e32 v12, v50, v25
	v_fmac_f32_e32 v35, v48, v32
	v_fma_f32 v25, v65, v32, -v33
	v_fmac_f32_e32 v30, 0xbf5db3d7, v27
	v_fmac_f32_e32 v59, 0x3f5db3d7, v27
	v_add_f32_e32 v27, v75, v7
	v_add_f32_e32 v7, v7, v8
	v_sub_f32_e32 v32, v11, v10
	v_mov_b32_e32 v33, v31
	v_fmac_f32_e32 v75, -0.5, v7
	v_fmac_f32_e32 v33, 0xbf5db3d7, v32
	v_fmac_f32_e32 v31, 0x3f5db3d7, v32
	v_add_f32_e32 v32, v36, v11
	v_add_f32_e32 v27, v27, v8
	v_sub_f32_e32 v7, v76, v77
	v_mov_b32_e32 v8, v75
	v_add_f32_e32 v45, v32, v10
	v_add_f32_e32 v10, v11, v10
	v_fmac_f32_e32 v8, 0x3f5db3d7, v7
	v_fmac_f32_e32 v75, 0xbf5db3d7, v7
	v_add_f32_e32 v7, v43, v78
	v_fma_f32 v10, -0.5, v10, v36
	v_add_f32_e32 v7, v7, v9
	v_sub_f32_e32 v9, v78, v9
	v_mov_b32_e32 v11, v10
	v_add_f32_e32 v32, v14, v19
	v_fmac_f32_e32 v11, 0x3f5db3d7, v9
	v_fmac_f32_e32 v10, 0xbf5db3d7, v9
	v_add_f32_e32 v9, v44, v14
	v_fmac_f32_e32 v44, -0.5, v32
	v_sub_f32_e32 v32, v15, v16
	v_mov_b32_e32 v34, v44
	v_fmac_f32_e32 v34, 0xbf5db3d7, v32
	v_fmac_f32_e32 v44, 0x3f5db3d7, v32
	v_add_f32_e32 v32, v37, v15
	v_add_f32_e32 v46, v32, v16
	;; [unrolled: 1-line block ×4, first 2 shown]
	v_fma_f32 v16, -0.5, v16, v41
	v_add_f32_e32 v9, v9, v19
	v_fmac_f32_e32 v37, -0.5, v15
	v_sub_f32_e32 v14, v14, v19
	v_sub_f32_e32 v19, v17, v18
	v_mov_b32_e32 v32, v16
	v_mov_b32_e32 v15, v37
	v_fmac_f32_e32 v32, 0xbf5db3d7, v19
	v_fmac_f32_e32 v16, 0x3f5db3d7, v19
	v_add_f32_e32 v19, v62, v17
	v_add_f32_e32 v17, v17, v18
	v_fmac_f32_e32 v15, 0x3f5db3d7, v14
	v_fmac_f32_e32 v37, 0xbf5db3d7, v14
	v_add_f32_e32 v14, v41, v12
	v_fma_f32 v17, -0.5, v17, v62
	v_add_f32_e32 v14, v14, v13
	v_add_f32_e32 v47, v19, v18
	v_sub_f32_e32 v12, v12, v13
	v_mov_b32_e32 v13, v17
	v_add_f32_e32 v18, v28, v35
	v_fmac_f32_e32 v13, 0x3f5db3d7, v12
	v_fmac_f32_e32 v17, 0xbf5db3d7, v12
	v_add_f32_e32 v12, v42, v28
	v_fmac_f32_e32 v42, -0.5, v18
	v_sub_f32_e32 v18, v20, v25
	v_mov_b32_e32 v19, v42
	v_fmac_f32_e32 v19, 0xbf5db3d7, v18
	v_fmac_f32_e32 v42, 0x3f5db3d7, v18
	v_add_f32_e32 v18, v63, v20
	v_add_f32_e32 v20, v20, v25
	v_fmac_f32_e32 v63, -0.5, v20
	v_add_f32_e32 v18, v18, v25
	v_sub_f32_e32 v20, v28, v35
	v_mov_b32_e32 v25, v63
	v_mov_b32_e32 v54, 2
	v_fmac_f32_e32 v25, 0x3f5db3d7, v20
	v_fmac_f32_e32 v63, 0xbf5db3d7, v20
	v_mad_u32_u24 v20, v40, s0, 0
	v_lshlrev_b32_sdwa v28, v54, v66 dst_sel:DWORD dst_unused:UNUSED_PAD src0_sel:DWORD src1_sel:BYTE_0
	v_add_f32_e32 v26, v26, v77
	v_add3_u32 v28, v20, v28, v0
	ds_write2_b32 v28, v26, v30 offset1:17
	ds_write_b32 v28, v59 offset:136
	v_mad_u32_u24 v20, v67, s0, 0
	v_lshlrev_b32_sdwa v26, v54, v68 dst_sel:DWORD dst_unused:UNUSED_PAD src0_sel:DWORD src1_sel:BYTE_0
	v_add3_u32 v26, v20, v26, v0
	ds_write2_b32 v26, v7, v33 offset1:17
	ds_write_b32 v26, v31 offset:136
	v_mad_u32_u24 v7, v69, s0, 0
	v_lshlrev_b32_sdwa v20, v54, v70 dst_sel:DWORD dst_unused:UNUSED_PAD src0_sel:DWORD src1_sel:BYTE_0
	;; [unrolled: 5-line block ×4, first 2 shown]
	v_add_f32_e32 v12, v12, v35
	v_add3_u32 v14, v14, v16, v0
	v_mov_b32_e32 v30, 0
	ds_write2_b32 v14, v12, v19 offset1:17
	ds_write_b32 v14, v42 offset:136
	s_waitcnt lgkmcnt(0)
	s_barrier
	ds_read_b32 v64, v4
	ds_read2_b32 v[19:20], v55 offset0:153 offset1:204
	ds_read2_b32 v[31:32], v58 offset0:127 offset1:178
	;; [unrolled: 1-line block ×7, first 2 shown]
	s_waitcnt lgkmcnt(0)
	s_barrier
	ds_write2_b32 v28, v27, v8 offset1:17
	ds_write_b32 v28, v75 offset:136
	ds_write2_b32 v26, v45, v11 offset1:17
	ds_write_b32 v26, v10 offset:136
	;; [unrolled: 2-line block ×5, first 2 shown]
	v_lshlrev_b64 v[7:8], 3, v[29:30]
	v_mov_b32_e32 v9, s13
	v_add_co_u32_e64 v15, s[0:1], s12, v7
	v_addc_co_u32_e64 v16, s[0:1], v9, v8, s[0:1]
	s_waitcnt lgkmcnt(0)
	s_barrier
	global_load_dwordx4 v[7:10], v[15:16], off offset:272
	global_load_dwordx4 v[11:14], v[15:16], off offset:288
	s_movk_i32 s0, 0xa1
	v_mul_lo_u16_sdwa v15, v22, s0 dst_sel:DWORD dst_unused:UNUSED_PAD src0_sel:BYTE_0 src1_sel:DWORD
	v_lshrrev_b16_e32 v15, 13, v15
	v_mul_lo_u16_e32 v15, 51, v15
	v_sub_u16_e32 v29, v22, v15
	v_mov_b32_e32 v15, 5
	v_lshlrev_b32_sdwa v37, v15, v29 dst_sel:DWORD dst_unused:UNUSED_PAD src0_sel:DWORD src1_sel:BYTE_0
	global_load_dwordx4 v[15:18], v37, s[12:13] offset:272
	global_load_dwordx4 v[25:28], v37, s[12:13] offset:288
	ds_read_b32 v37, v4
	ds_read2_b32 v[44:45], v55 offset0:153 offset1:204
	ds_read2_b32 v[46:47], v58 offset0:127 offset1:178
	;; [unrolled: 1-line block ×7, first 2 shown]
	s_waitcnt vmcnt(0) lgkmcnt(0)
	s_barrier
	v_mul_f32_e32 v63, v44, v8
	v_fmac_f32_e32 v63, v19, v7
	v_mul_f32_e32 v19, v19, v8
	v_fma_f32 v19, v44, v7, -v19
	v_mul_f32_e32 v44, v47, v10
	v_fmac_f32_e32 v44, v32, v9
	v_mul_f32_e32 v32, v32, v10
	v_fma_f32 v32, v47, v9, -v32
	;; [unrolled: 4-line block ×4, first 2 shown]
	v_mul_f32_e32 v51, v45, v8
	v_mul_f32_e32 v8, v20, v8
	v_fmac_f32_e32 v51, v20, v7
	v_fma_f32 v7, v45, v7, -v8
	v_mul_f32_e32 v8, v59, v10
	v_mul_f32_e32 v10, v40, v10
	v_fmac_f32_e32 v8, v40, v9
	v_fma_f32 v9, v59, v9, -v10
	;; [unrolled: 4-line block ×4, first 2 shown]
	v_lshlrev_b32_sdwa v14, v54, v29 dst_sel:DWORD dst_unused:UNUSED_PAD src0_sel:DWORD src1_sel:BYTE_0
	v_mul_f32_e32 v20, v46, v16
	v_mul_f32_e32 v16, v31, v16
	v_add_f32_e32 v29, v44, v47
	v_fmac_f32_e32 v20, v31, v15
	v_fma_f32 v15, v46, v15, -v16
	v_mul_f32_e32 v16, v60, v18
	v_mul_f32_e32 v18, v41, v18
	v_fma_f32 v29, -0.5, v29, v64
	v_fmac_f32_e32 v16, v41, v17
	v_fma_f32 v17, v60, v17, -v18
	v_mul_f32_e32 v18, v50, v26
	v_sub_f32_e32 v31, v19, v36
	v_mov_b32_e32 v34, v29
	v_fmac_f32_e32 v18, v35, v25
	v_mul_f32_e32 v26, v35, v26
	v_fmac_f32_e32 v34, 0xbf737871, v31
	v_sub_f32_e32 v35, v32, v33
	v_sub_f32_e32 v40, v63, v44
	;; [unrolled: 1-line block ×3, first 2 shown]
	v_fmac_f32_e32 v29, 0x3f737871, v31
	v_fmac_f32_e32 v34, 0xbf167918, v35
	v_add_f32_e32 v40, v40, v41
	v_fmac_f32_e32 v29, 0x3f167918, v35
	v_fma_f32 v25, v50, v25, -v26
	v_mul_f32_e32 v26, v62, v28
	v_mul_f32_e32 v28, v43, v28
	v_fmac_f32_e32 v34, 0x3e9e377a, v40
	v_fmac_f32_e32 v29, 0x3e9e377a, v40
	v_add_f32_e32 v40, v63, v48
	v_fmac_f32_e32 v26, v43, v27
	v_fma_f32 v27, v62, v27, -v28
	v_add_f32_e32 v28, v64, v63
	v_fmac_f32_e32 v64, -0.5, v40
	v_mov_b32_e32 v40, v64
	v_fmac_f32_e32 v40, 0x3f737871, v35
	v_sub_f32_e32 v41, v44, v63
	v_sub_f32_e32 v42, v47, v48
	v_fmac_f32_e32 v64, 0xbf737871, v35
	v_add_f32_e32 v35, v32, v33
	v_fmac_f32_e32 v40, 0xbf167918, v31
	v_add_f32_e32 v41, v41, v42
	v_fmac_f32_e32 v64, 0x3f167918, v31
	v_fma_f32 v35, -0.5, v35, v37
	v_fmac_f32_e32 v40, 0x3e9e377a, v41
	v_fmac_f32_e32 v64, 0x3e9e377a, v41
	v_sub_f32_e32 v41, v63, v48
	v_mov_b32_e32 v42, v35
	v_add_f32_e32 v28, v28, v44
	v_fmac_f32_e32 v42, 0x3f737871, v41
	v_sub_f32_e32 v43, v44, v47
	v_sub_f32_e32 v44, v19, v32
	;; [unrolled: 1-line block ×3, first 2 shown]
	v_fmac_f32_e32 v35, 0xbf737871, v41
	v_add_f32_e32 v31, v37, v19
	v_fmac_f32_e32 v42, 0x3f167918, v43
	v_add_f32_e32 v44, v44, v45
	;; [unrolled: 2-line block ×3, first 2 shown]
	v_fmac_f32_e32 v42, 0x3e9e377a, v44
	v_fmac_f32_e32 v35, 0x3e9e377a, v44
	v_add_f32_e32 v44, v19, v36
	v_sub_f32_e32 v19, v32, v19
	v_sub_f32_e32 v32, v33, v36
	v_fmac_f32_e32 v37, -0.5, v44
	v_add_f32_e32 v19, v19, v32
	v_add_f32_e32 v32, v8, v10
	v_add_f32_e32 v31, v31, v33
	v_mov_b32_e32 v44, v37
	v_fma_f32 v32, -0.5, v32, v38
	v_add_f32_e32 v31, v31, v36
	v_fmac_f32_e32 v44, 0xbf737871, v43
	v_fmac_f32_e32 v37, 0x3f737871, v43
	v_sub_f32_e32 v33, v7, v13
	v_mov_b32_e32 v36, v32
	v_fmac_f32_e32 v44, 0x3f167918, v41
	v_fmac_f32_e32 v37, 0xbf167918, v41
	;; [unrolled: 1-line block ×3, first 2 shown]
	v_sub_f32_e32 v41, v9, v11
	v_sub_f32_e32 v43, v51, v8
	;; [unrolled: 1-line block ×3, first 2 shown]
	v_fmac_f32_e32 v32, 0x3f737871, v33
	v_fmac_f32_e32 v36, 0xbf167918, v41
	v_add_f32_e32 v43, v43, v45
	v_fmac_f32_e32 v32, 0x3f167918, v41
	v_fmac_f32_e32 v36, 0x3e9e377a, v43
	;; [unrolled: 1-line block ×3, first 2 shown]
	v_add_f32_e32 v43, v51, v12
	v_fmac_f32_e32 v44, 0x3e9e377a, v19
	v_fmac_f32_e32 v37, 0x3e9e377a, v19
	v_add_f32_e32 v19, v38, v51
	v_fma_f32 v38, -0.5, v43, v38
	v_mov_b32_e32 v43, v38
	v_add_f32_e32 v19, v19, v8
	v_fmac_f32_e32 v43, 0x3f737871, v41
	v_sub_f32_e32 v45, v8, v51
	v_sub_f32_e32 v46, v10, v12
	v_fmac_f32_e32 v38, 0xbf737871, v41
	v_add_f32_e32 v41, v9, v11
	v_add_f32_e32 v19, v19, v10
	v_fmac_f32_e32 v43, 0xbf167918, v33
	v_add_f32_e32 v45, v45, v46
	v_fmac_f32_e32 v38, 0x3f167918, v33
	v_fma_f32 v41, -0.5, v41, v52
	v_add_f32_e32 v19, v19, v12
	v_fmac_f32_e32 v43, 0x3e9e377a, v45
	v_fmac_f32_e32 v38, 0x3e9e377a, v45
	v_sub_f32_e32 v12, v51, v12
	v_mov_b32_e32 v45, v41
	v_fmac_f32_e32 v45, 0x3f737871, v12
	v_sub_f32_e32 v8, v8, v10
	v_sub_f32_e32 v10, v7, v9
	;; [unrolled: 1-line block ×3, first 2 shown]
	v_fmac_f32_e32 v41, 0xbf737871, v12
	v_fmac_f32_e32 v45, 0x3f167918, v8
	v_add_f32_e32 v10, v10, v46
	v_fmac_f32_e32 v41, 0xbf167918, v8
	v_fmac_f32_e32 v45, 0x3e9e377a, v10
	;; [unrolled: 1-line block ×3, first 2 shown]
	v_add_f32_e32 v10, v7, v13
	v_fma_f32 v46, -0.5, v10, v52
	v_add_f32_e32 v28, v28, v47
	v_mov_b32_e32 v47, v46
	v_add_f32_e32 v33, v52, v7
	v_fmac_f32_e32 v47, 0xbf737871, v8
	v_fmac_f32_e32 v46, 0x3f737871, v8
	v_add_f32_e32 v8, v16, v18
	v_add_f32_e32 v33, v33, v9
	v_sub_f32_e32 v7, v9, v7
	v_sub_f32_e32 v9, v11, v13
	v_fma_f32 v8, -0.5, v8, v39
	v_add_f32_e32 v33, v33, v11
	v_add_f32_e32 v7, v7, v9
	v_sub_f32_e32 v9, v15, v27
	v_mov_b32_e32 v10, v8
	v_add_f32_e32 v33, v33, v13
	v_fmac_f32_e32 v47, 0x3f167918, v12
	v_fmac_f32_e32 v46, 0xbf167918, v12
	;; [unrolled: 1-line block ×3, first 2 shown]
	v_sub_f32_e32 v11, v17, v25
	v_sub_f32_e32 v12, v20, v16
	;; [unrolled: 1-line block ×3, first 2 shown]
	v_fmac_f32_e32 v8, 0x3f737871, v9
	v_fmac_f32_e32 v10, 0xbf167918, v11
	v_add_f32_e32 v12, v12, v13
	v_fmac_f32_e32 v8, 0x3f167918, v11
	v_fmac_f32_e32 v10, 0x3e9e377a, v12
	;; [unrolled: 1-line block ×3, first 2 shown]
	v_add_f32_e32 v12, v20, v26
	v_fmac_f32_e32 v47, 0x3e9e377a, v7
	v_fmac_f32_e32 v46, 0x3e9e377a, v7
	v_add_f32_e32 v7, v39, v20
	v_fmac_f32_e32 v39, -0.5, v12
	v_mov_b32_e32 v12, v39
	v_fmac_f32_e32 v12, 0x3f737871, v11
	v_fmac_f32_e32 v39, 0xbf737871, v11
	;; [unrolled: 1-line block ×4, first 2 shown]
	v_add_f32_e32 v9, v53, v15
	v_add_f32_e32 v9, v9, v17
	;; [unrolled: 1-line block ×3, first 2 shown]
	v_sub_f32_e32 v13, v16, v20
	v_sub_f32_e32 v48, v18, v26
	v_add_f32_e32 v9, v9, v25
	v_add_f32_e32 v7, v7, v16
	;; [unrolled: 1-line block ×6, first 2 shown]
	v_fma_f32 v49, -0.5, v9, v53
	v_add_f32_e32 v7, v7, v26
	v_sub_f32_e32 v9, v20, v26
	v_mov_b32_e32 v26, v49
	v_fmac_f32_e32 v12, 0x3e9e377a, v13
	v_fmac_f32_e32 v39, 0x3e9e377a, v13
	;; [unrolled: 1-line block ×3, first 2 shown]
	v_sub_f32_e32 v11, v16, v18
	v_sub_f32_e32 v13, v15, v17
	;; [unrolled: 1-line block ×3, first 2 shown]
	v_fmac_f32_e32 v49, 0xbf737871, v9
	v_fmac_f32_e32 v26, 0x3f167918, v11
	v_add_f32_e32 v13, v13, v16
	v_fmac_f32_e32 v49, 0xbf167918, v11
	v_fmac_f32_e32 v26, 0x3e9e377a, v13
	;; [unrolled: 1-line block ×3, first 2 shown]
	v_add_f32_e32 v13, v15, v27
	v_fmac_f32_e32 v53, -0.5, v13
	v_mov_b32_e32 v50, v53
	v_fmac_f32_e32 v50, 0xbf737871, v11
	v_sub_f32_e32 v13, v17, v15
	v_sub_f32_e32 v15, v25, v27
	v_fmac_f32_e32 v53, 0x3f737871, v11
	v_add3_u32 v25, 0, v14, v0
	v_fmac_f32_e32 v50, 0x3f167918, v9
	v_add_f32_e32 v13, v13, v15
	v_fmac_f32_e32 v53, 0xbf167918, v9
	ds_write2_b32 v55, v28, v34 offset1:51
	ds_write2_b32 v55, v40, v64 offset0:102 offset1:153
	ds_write2_b32 v55, v29, v19 offset0:204 offset1:255
	;; [unrolled: 1-line block ×4, first 2 shown]
	v_add_u32_e32 v27, 0x600, v25
	v_add_u32_e32 v28, 0x800, v25
	v_fmac_f32_e32 v50, 0x3e9e377a, v13
	v_fmac_f32_e32 v53, 0x3e9e377a, v13
	ds_write2_b32 v27, v7, v10 offset0:126 offset1:177
	ds_write2_b32 v28, v12, v39 offset0:100 offset1:151
	ds_write_b32 v25, v8 offset:2856
	s_waitcnt lgkmcnt(0)
	s_barrier
	ds_read_b32 v0, v4
	ds_read2_b32 v[9:10], v58 offset0:127 offset1:178
	ds_read2_b32 v[7:8], v56 offset0:203 offset1:254
	ds_read2_b32 v[11:12], v55 offset0:51 offset1:102
	ds_read2_b32 v[13:14], v57 offset0:49 offset1:100
	ds_read2_b32 v[15:16], v56 offset0:101 offset1:152
	ds_read2_b32 v[17:18], v55 offset0:153 offset1:204
	ds_read2_b32 v[19:20], v57 offset0:151 offset1:202
	s_waitcnt lgkmcnt(0)
	s_barrier
	ds_write2_b32 v55, v31, v42 offset1:51
	ds_write2_b32 v55, v44, v37 offset0:102 offset1:153
	ds_write2_b32 v55, v35, v33 offset0:204 offset1:255
	;; [unrolled: 1-line block ×6, first 2 shown]
	ds_write_b32 v25, v49 offset:2856
	s_waitcnt lgkmcnt(0)
	s_barrier
	s_and_saveexec_b64 s[0:1], vcc
	s_cbranch_execz .LBB0_16
; %bb.15:
	v_lshlrev_b32_e32 v29, 1, v21
	v_lshlrev_b64 v[25:26], 3, v[29:30]
	v_lshlrev_b32_e32 v29, 1, v23
	v_mov_b32_e32 v45, s13
	v_add_co_u32_e32 v25, vcc, s12, v25
	v_lshlrev_b64 v[31:32], 3, v[29:30]
	v_addc_co_u32_e32 v26, vcc, v45, v26, vcc
	v_add_co_u32_e32 v31, vcc, s12, v31
	global_load_dwordx4 v[25:28], v[25:26], off offset:1904
	v_addc_co_u32_e32 v32, vcc, v45, v32, vcc
	global_load_dwordx4 v[31:34], v[31:32], off offset:1904
	v_lshlrev_b32_e32 v29, 1, v22
	v_lshlrev_b64 v[35:36], 3, v[29:30]
	v_mul_lo_u32 v39, s3, v5
	v_add_co_u32_e32 v35, vcc, s12, v35
	v_addc_co_u32_e32 v36, vcc, v45, v36, vcc
	global_load_dwordx4 v[35:38], v[35:36], off offset:1904
	v_mul_lo_u32 v40, s2, v6
	v_mad_u64_u32 v[5:6], s[0:1], s2, v5, 0
	v_add_u32_e32 v29, 0x400, v55
	ds_read2_b32 v[47:48], v55 offset0:153 offset1:204
	v_add_u32_e32 v56, 0x800, v55
	ds_read2_b32 v[49:50], v29 offset0:203 offset1:254
	ds_read2_b32 v[51:52], v56 offset0:151 offset1:202
	;; [unrolled: 1-line block ×3, first 2 shown]
	v_lshlrev_b32_e32 v29, 1, v24
	v_add3_u32 v6, v6, v40, v39
	v_lshlrev_b64 v[39:40], 3, v[29:30]
	v_lshlrev_b32_e32 v29, 1, v3
	v_add_co_u32_e32 v39, vcc, s12, v39
	v_addc_co_u32_e32 v40, vcc, v45, v40, vcc
	global_load_dwordx4 v[39:42], v[39:40], off offset:1904
	v_lshlrev_b64 v[43:44], 3, v[29:30]
	v_lshlrev_b64 v[5:6], 3, v[5:6]
	v_add_co_u32_e32 v43, vcc, s12, v43
	v_addc_co_u32_e32 v44, vcc, v45, v44, vcc
	global_load_dwordx4 v[43:46], v[43:44], off offset:1904
	v_add_co_u32_e32 v5, vcc, s10, v5
	s_mov_b32 s1, 0x80808081
	s_movk_i32 s0, 0x1000
	s_waitcnt vmcnt(4)
	v_mul_f32_e32 v24, v7, v26
	v_mul_f32_e32 v29, v20, v28
	s_waitcnt lgkmcnt(2)
	v_mul_f32_e32 v26, v49, v26
	s_waitcnt lgkmcnt(1)
	v_mul_f32_e32 v28, v52, v28
	v_fma_f32 v24, v49, v25, -v24
	v_fma_f32 v29, v52, v27, -v29
	v_fmac_f32_e32 v26, v7, v25
	v_fmac_f32_e32 v28, v20, v27
	s_waitcnt vmcnt(3)
	v_mul_f32_e32 v7, v16, v32
	v_mul_f32_e32 v20, v19, v34
	s_waitcnt lgkmcnt(0)
	v_mul_f32_e32 v49, v54, v32
	v_mul_f32_e32 v52, v51, v34
	v_fma_f32 v7, v54, v31, -v7
	v_fma_f32 v20, v51, v33, -v20
	v_fmac_f32_e32 v49, v16, v31
	v_fmac_f32_e32 v52, v19, v33
	v_add_f32_e32 v32, v26, v28
	v_add_f32_e32 v16, v7, v20
	v_add_f32_e32 v31, v49, v52
	v_add_f32_e32 v25, v24, v29
	v_add_f32_e32 v27, v48, v24
	v_sub_f32_e32 v58, v24, v29
	v_add_f32_e32 v24, v18, v26
	v_fma_f32 v18, -0.5, v32, v18
	v_fma_f32 v32, -0.5, v16, v47
	;; [unrolled: 1-line block ×3, first 2 shown]
	v_sub_f32_e32 v57, v26, v28
	v_fma_f32 v19, -0.5, v25, v48
	v_add_f32_e32 v25, v27, v29
	v_add_f32_e32 v24, v24, v28
	v_sub_f32_e32 v28, v49, v52
	v_add_f32_e32 v29, v47, v7
	v_sub_f32_e32 v7, v7, v20
	v_mov_b32_e32 v48, v32
	v_mov_b32_e32 v47, v31
	v_add_f32_e32 v34, v29, v20
	v_fmac_f32_e32 v32, 0x3f5db3d7, v28
	v_fmac_f32_e32 v48, 0xbf5db3d7, v28
	;; [unrolled: 1-line block ×4, first 2 shown]
	v_add_f32_e32 v7, v17, v49
	ds_read2_b32 v[16:17], v56 offset0:49 offset1:100
	ds_read2_b32 v[28:29], v55 offset0:51 offset1:102
	v_add_f32_e32 v33, v7, v52
	s_waitcnt vmcnt(2)
	v_mul_f32_e32 v7, v15, v36
	v_mul_f32_e32 v20, v14, v38
	v_fma_f32 v7, v53, v35, -v7
	s_waitcnt lgkmcnt(1)
	v_fma_f32 v20, v17, v37, -v20
	v_add_f32_e32 v49, v7, v20
	s_waitcnt lgkmcnt(0)
	v_fma_f32 v52, -0.5, v49, v29
	v_mul_f32_e32 v49, v53, v36
	v_mul_f32_e32 v17, v17, v38
	v_fmac_f32_e32 v49, v15, v35
	v_fmac_f32_e32 v17, v14, v37
	v_add_f32_e32 v14, v49, v17
	v_fma_f32 v51, -0.5, v14, v12
	v_sub_f32_e32 v35, v49, v17
	v_mov_b32_e32 v15, v52
	v_sub_f32_e32 v36, v7, v20
	v_mov_b32_e32 v14, v51
	v_add_f32_e32 v7, v29, v7
	v_add_u32_e32 v29, 0x200, v55
	v_fmac_f32_e32 v15, 0xbf5db3d7, v35
	v_fmac_f32_e32 v14, 0x3f5db3d7, v36
	v_fmac_f32_e32 v52, 0x3f5db3d7, v35
	v_fmac_f32_e32 v51, 0xbf5db3d7, v36
	ds_read2_b32 v[35:36], v29 offset0:127 offset1:178
	v_add_f32_e32 v38, v7, v20
	v_add_f32_e32 v7, v12, v49
	;; [unrolled: 1-line block ×3, first 2 shown]
	s_waitcnt vmcnt(1)
	v_mul_f32_e32 v7, v10, v40
	v_mul_f32_e32 v12, v13, v42
	s_waitcnt lgkmcnt(0)
	v_fma_f32 v7, v36, v39, -v7
	v_fma_f32 v20, v16, v41, -v12
	v_mul_f32_e32 v36, v36, v40
	v_add_f32_e32 v12, v7, v20
	v_fmac_f32_e32 v36, v10, v39
	v_mul_f32_e32 v10, v16, v42
	v_fma_f32 v17, -0.5, v12, v28
	v_fmac_f32_e32 v10, v13, v41
	v_sub_f32_e32 v29, v36, v10
	v_mov_b32_e32 v13, v17
	v_sub_f32_e32 v39, v7, v20
	v_add_f32_e32 v7, v28, v7
	v_fmac_f32_e32 v13, 0xbf5db3d7, v29
	v_add_f32_e32 v12, v36, v10
	v_fmac_f32_e32 v17, 0x3f5db3d7, v29
	v_add_f32_e32 v29, v7, v20
	v_add_f32_e32 v7, v11, v36
	ds_read_b32 v4, v4
	v_fma_f32 v16, -0.5, v12, v11
	v_add_f32_e32 v28, v7, v10
	s_waitcnt vmcnt(0)
	v_mul_f32_e32 v7, v9, v44
	v_mov_b32_e32 v12, v16
	v_fma_f32 v11, v35, v43, -v7
	v_mul_f32_e32 v7, v8, v46
	v_fmac_f32_e32 v12, 0x3f5db3d7, v39
	v_fmac_f32_e32 v16, 0xbf5db3d7, v39
	v_fma_f32 v20, v50, v45, -v7
	v_mul_f32_e32 v35, v35, v44
	v_mul_f32_e32 v39, v50, v46
	v_add_f32_e32 v7, v11, v20
	v_fmac_f32_e32 v35, v9, v43
	v_fmac_f32_e32 v39, v8, v45
	s_waitcnt lgkmcnt(0)
	v_fma_f32 v10, -0.5, v7, v4
	v_add_f32_e32 v7, v35, v39
	v_fma_f32 v9, -0.5, v7, v0
	v_add_f32_e32 v0, v0, v35
	v_sub_f32_e32 v36, v35, v39
	v_add_f32_e32 v35, v0, v39
	v_mov_b32_e32 v0, s11
	v_addc_co_u32_e32 v6, vcc, v0, v6, vcc
	v_lshlrev_b64 v[0:1], 3, v[1:2]
	v_mov_b32_e32 v8, v10
	v_add_f32_e32 v4, v4, v11
	v_fmac_f32_e32 v8, 0xbf5db3d7, v36
	v_fmac_f32_e32 v10, 0x3f5db3d7, v36
	v_add_f32_e32 v36, v4, v20
	v_mov_b32_e32 v4, v30
	v_add_co_u32_e32 v2, vcc, v5, v0
	v_addc_co_u32_e32 v5, vcc, v6, v1, vcc
	v_lshlrev_b64 v[0:1], 3, v[3:4]
	v_mul_hi_u32 v4, v22, s1
	v_add_co_u32_e32 v0, vcc, v2, v0
	v_addc_co_u32_e32 v1, vcc, v5, v1, vcc
	v_add_co_u32_e32 v2, vcc, s0, v0
	v_sub_f32_e32 v40, v11, v20
	v_mov_b32_e32 v7, v9
	v_addc_co_u32_e32 v3, vcc, 0, v1, vcc
	v_fmac_f32_e32 v7, 0x3f5db3d7, v40
	v_fmac_f32_e32 v9, 0xbf5db3d7, v40
	global_store_dwordx2 v[0:1], v[35:36], off
	global_store_dwordx2 v[0:1], v[9:10], off offset:2040
	global_store_dwordx2 v[0:1], v[7:8], off offset:4080
	;; [unrolled: 1-line block ×5, first 2 shown]
	v_lshrrev_b32_e32 v2, 7, v4
	v_mul_u32_u24_e32 v29, 0x1fe, v2
	v_lshlrev_b64 v[2:3], 3, v[29:30]
	v_mul_hi_u32 v6, v23, s1
	v_add_co_u32_e32 v2, vcc, v0, v2
	v_addc_co_u32_e32 v3, vcc, v1, v3, vcc
	s_movk_i32 s0, 0x330
	v_add_co_u32_e32 v4, vcc, s0, v2
	v_addc_co_u32_e32 v5, vcc, 0, v3, vcc
	global_store_dwordx2 v[2:3], v[37:38], off offset:816
	global_store_dwordx2 v[2:3], v[51:52], off offset:2856
	;; [unrolled: 1-line block ×3, first 2 shown]
	v_lshrrev_b32_e32 v2, 7, v6
	v_mul_u32_u24_e32 v29, 0x1fe, v2
	v_lshlrev_b64 v[2:3], 3, v[29:30]
	v_mul_hi_u32 v6, v21, s1
	v_add_co_u32_e32 v2, vcc, v0, v2
	v_addc_co_u32_e32 v3, vcc, v1, v3, vcc
	s_movk_i32 s0, 0x4c8
	v_add_co_u32_e32 v4, vcc, s0, v2
	v_addc_co_u32_e32 v5, vcc, 0, v3, vcc
	global_store_dwordx2 v[2:3], v[33:34], off offset:1224
	global_store_dwordx2 v[2:3], v[31:32], off offset:3264
	;; [unrolled: 1-line block ×3, first 2 shown]
	v_lshrrev_b32_e32 v2, 7, v6
	v_mul_u32_u24_e32 v29, 0x1fe, v2
	v_lshlrev_b64 v[2:3], 3, v[29:30]
	v_mov_b32_e32 v27, v19
	v_add_co_u32_e32 v0, vcc, v0, v2
	v_addc_co_u32_e32 v1, vcc, v1, v3, vcc
	v_mov_b32_e32 v26, v18
	v_add_co_u32_e32 v2, vcc, 0x660, v0
	v_fmac_f32_e32 v19, 0x3f5db3d7, v57
	v_fmac_f32_e32 v18, 0xbf5db3d7, v58
	;; [unrolled: 1-line block ×4, first 2 shown]
	v_addc_co_u32_e32 v3, vcc, 0, v1, vcc
	global_store_dwordx2 v[0:1], v[24:25], off offset:1632
	global_store_dwordx2 v[0:1], v[18:19], off offset:3672
	;; [unrolled: 1-line block ×3, first 2 shown]
.LBB0_16:
	s_endpgm
	.section	.rodata,"a",@progbits
	.p2align	6, 0x0
	.amdhsa_kernel fft_rtc_back_len765_factors_17_3_5_3_wgs_255_tpt_51_halfLds_sp_op_CI_CI_unitstride_sbrr_dirReg
		.amdhsa_group_segment_fixed_size 0
		.amdhsa_private_segment_fixed_size 0
		.amdhsa_kernarg_size 104
		.amdhsa_user_sgpr_count 6
		.amdhsa_user_sgpr_private_segment_buffer 1
		.amdhsa_user_sgpr_dispatch_ptr 0
		.amdhsa_user_sgpr_queue_ptr 0
		.amdhsa_user_sgpr_kernarg_segment_ptr 1
		.amdhsa_user_sgpr_dispatch_id 0
		.amdhsa_user_sgpr_flat_scratch_init 0
		.amdhsa_user_sgpr_private_segment_size 0
		.amdhsa_uses_dynamic_stack 0
		.amdhsa_system_sgpr_private_segment_wavefront_offset 0
		.amdhsa_system_sgpr_workgroup_id_x 1
		.amdhsa_system_sgpr_workgroup_id_y 0
		.amdhsa_system_sgpr_workgroup_id_z 0
		.amdhsa_system_sgpr_workgroup_info 0
		.amdhsa_system_vgpr_workitem_id 0
		.amdhsa_next_free_vgpr 79
		.amdhsa_next_free_sgpr 28
		.amdhsa_reserve_vcc 1
		.amdhsa_reserve_flat_scratch 0
		.amdhsa_float_round_mode_32 0
		.amdhsa_float_round_mode_16_64 0
		.amdhsa_float_denorm_mode_32 3
		.amdhsa_float_denorm_mode_16_64 3
		.amdhsa_dx10_clamp 1
		.amdhsa_ieee_mode 1
		.amdhsa_fp16_overflow 0
		.amdhsa_exception_fp_ieee_invalid_op 0
		.amdhsa_exception_fp_denorm_src 0
		.amdhsa_exception_fp_ieee_div_zero 0
		.amdhsa_exception_fp_ieee_overflow 0
		.amdhsa_exception_fp_ieee_underflow 0
		.amdhsa_exception_fp_ieee_inexact 0
		.amdhsa_exception_int_div_zero 0
	.end_amdhsa_kernel
	.text
.Lfunc_end0:
	.size	fft_rtc_back_len765_factors_17_3_5_3_wgs_255_tpt_51_halfLds_sp_op_CI_CI_unitstride_sbrr_dirReg, .Lfunc_end0-fft_rtc_back_len765_factors_17_3_5_3_wgs_255_tpt_51_halfLds_sp_op_CI_CI_unitstride_sbrr_dirReg
                                        ; -- End function
	.section	.AMDGPU.csdata,"",@progbits
; Kernel info:
; codeLenInByte = 10812
; NumSgprs: 32
; NumVgprs: 79
; ScratchSize: 0
; MemoryBound: 0
; FloatMode: 240
; IeeeMode: 1
; LDSByteSize: 0 bytes/workgroup (compile time only)
; SGPRBlocks: 3
; VGPRBlocks: 19
; NumSGPRsForWavesPerEU: 32
; NumVGPRsForWavesPerEU: 79
; Occupancy: 3
; WaveLimiterHint : 1
; COMPUTE_PGM_RSRC2:SCRATCH_EN: 0
; COMPUTE_PGM_RSRC2:USER_SGPR: 6
; COMPUTE_PGM_RSRC2:TRAP_HANDLER: 0
; COMPUTE_PGM_RSRC2:TGID_X_EN: 1
; COMPUTE_PGM_RSRC2:TGID_Y_EN: 0
; COMPUTE_PGM_RSRC2:TGID_Z_EN: 0
; COMPUTE_PGM_RSRC2:TIDIG_COMP_CNT: 0
	.type	__hip_cuid_408733c58af7294d,@object ; @__hip_cuid_408733c58af7294d
	.section	.bss,"aw",@nobits
	.globl	__hip_cuid_408733c58af7294d
__hip_cuid_408733c58af7294d:
	.byte	0                               ; 0x0
	.size	__hip_cuid_408733c58af7294d, 1

	.ident	"AMD clang version 19.0.0git (https://github.com/RadeonOpenCompute/llvm-project roc-6.4.0 25133 c7fe45cf4b819c5991fe208aaa96edf142730f1d)"
	.section	".note.GNU-stack","",@progbits
	.addrsig
	.addrsig_sym __hip_cuid_408733c58af7294d
	.amdgpu_metadata
---
amdhsa.kernels:
  - .args:
      - .actual_access:  read_only
        .address_space:  global
        .offset:         0
        .size:           8
        .value_kind:     global_buffer
      - .offset:         8
        .size:           8
        .value_kind:     by_value
      - .actual_access:  read_only
        .address_space:  global
        .offset:         16
        .size:           8
        .value_kind:     global_buffer
      - .actual_access:  read_only
        .address_space:  global
        .offset:         24
        .size:           8
        .value_kind:     global_buffer
      - .actual_access:  read_only
        .address_space:  global
        .offset:         32
        .size:           8
        .value_kind:     global_buffer
      - .offset:         40
        .size:           8
        .value_kind:     by_value
      - .actual_access:  read_only
        .address_space:  global
        .offset:         48
        .size:           8
        .value_kind:     global_buffer
      - .actual_access:  read_only
        .address_space:  global
        .offset:         56
        .size:           8
        .value_kind:     global_buffer
      - .offset:         64
        .size:           4
        .value_kind:     by_value
      - .actual_access:  read_only
        .address_space:  global
        .offset:         72
        .size:           8
        .value_kind:     global_buffer
      - .actual_access:  read_only
        .address_space:  global
        .offset:         80
        .size:           8
        .value_kind:     global_buffer
      - .actual_access:  read_only
        .address_space:  global
        .offset:         88
        .size:           8
        .value_kind:     global_buffer
      - .actual_access:  write_only
        .address_space:  global
        .offset:         96
        .size:           8
        .value_kind:     global_buffer
    .group_segment_fixed_size: 0
    .kernarg_segment_align: 8
    .kernarg_segment_size: 104
    .language:       OpenCL C
    .language_version:
      - 2
      - 0
    .max_flat_workgroup_size: 255
    .name:           fft_rtc_back_len765_factors_17_3_5_3_wgs_255_tpt_51_halfLds_sp_op_CI_CI_unitstride_sbrr_dirReg
    .private_segment_fixed_size: 0
    .sgpr_count:     32
    .sgpr_spill_count: 0
    .symbol:         fft_rtc_back_len765_factors_17_3_5_3_wgs_255_tpt_51_halfLds_sp_op_CI_CI_unitstride_sbrr_dirReg.kd
    .uniform_work_group_size: 1
    .uses_dynamic_stack: false
    .vgpr_count:     79
    .vgpr_spill_count: 0
    .wavefront_size: 64
amdhsa.target:   amdgcn-amd-amdhsa--gfx906
amdhsa.version:
  - 1
  - 2
...

	.end_amdgpu_metadata
